;; amdgpu-corpus repo=zjin-lcf/HeCBench kind=compiled arch=gfx1250 opt=O3
	.amdgcn_target "amdgcn-amd-amdhsa--gfx1250"
	.amdhsa_code_object_version 6
	.section	.text._Z20warp_multiply_kernelIfEviiiPKiS1_PKT_S4_PS2_,"axG",@progbits,_Z20warp_multiply_kernelIfEviiiPKiS1_PKT_S4_PS2_,comdat
	.protected	_Z20warp_multiply_kernelIfEviiiPKiS1_PKT_S4_PS2_ ; -- Begin function _Z20warp_multiply_kernelIfEviiiPKiS1_PKT_S4_PS2_
	.globl	_Z20warp_multiply_kernelIfEviiiPKiS1_PKT_S4_PS2_
	.p2align	8
	.type	_Z20warp_multiply_kernelIfEviiiPKiS1_PKT_S4_PS2_,@function
_Z20warp_multiply_kernelIfEviiiPKiS1_PKT_S4_PS2_: ; @_Z20warp_multiply_kernelIfEviiiPKiS1_PKT_S4_PS2_
; %bb.0:
	s_mov_b64 s[2:3], src_shared_base
	s_clause 0x1
	s_load_b32 s2, s[0:1], 0x44
	s_load_b96 s[12:14], s[0:1], 0x0
	s_bfe_u32 s4, ttmp6, 0x4000c
	s_and_b32 s5, ttmp6, 15
	s_add_co_i32 s4, s4, 1
	s_getreg_b32 s6, hwreg(HW_REG_IB_STS2, 6, 4)
	s_mul_i32 s4, ttmp9, s4
	s_delay_alu instid0(SALU_CYCLE_1)
	s_add_co_i32 s5, s5, s4
	s_wait_kmcnt 0x0
	s_and_b32 s2, s2, 0xffff
	s_cmp_eq_u32 s6, 0
	s_cselect_b32 s4, ttmp9, s5
	s_abs_i32 s5, s12
	v_mad_u32 v7, s4, s2, v0
	s_cvt_f32_u32 s6, s5
	s_sub_co_i32 s4, 0, s5
	v_lshlrev_b32_e32 v0, 2, v0
	s_delay_alu instid0(SALU_CYCLE_1) | instskip(SKIP_1) | instid1(TRANS32_DEP_1)
	v_rcp_iflag_f32_e32 v1, s6
	v_nop
	v_readfirstlane_b32 s2, v1
	s_delay_alu instid0(VALU_DEP_4) | instskip(SKIP_1) | instid1(VALU_DEP_1)
	v_sub_nc_u32_e32 v1, 0, v7
	s_mul_f32 s2, s2, 0x4f7ffffe
	v_max_i32_e32 v1, v7, v1
	s_delay_alu instid0(SALU_CYCLE_2) | instskip(NEXT) | instid1(SALU_CYCLE_3)
	s_cvt_u32_f32 s2, s2
	s_mul_i32 s4, s4, s2
	s_delay_alu instid0(SALU_CYCLE_1) | instskip(NEXT) | instid1(SALU_CYCLE_1)
	s_mul_hi_u32 s4, s2, s4
	s_add_co_i32 s2, s2, s4
	s_delay_alu instid0(SALU_CYCLE_1) | instskip(SKIP_1) | instid1(VALU_DEP_1)
	v_mul_hi_u32 v2, v1, s2
	s_mov_b32 s2, exec_lo
	v_mul_lo_u32 v3, v2, s5
	s_delay_alu instid0(VALU_DEP_1) | instskip(NEXT) | instid1(VALU_DEP_1)
	v_dual_sub_nc_u32 v1, v1, v3 :: v_dual_add_nc_u32 v3, 1, v2
	v_subrev_nc_u32_e32 v4, s5, v1
	v_cmp_le_u32_e32 vcc_lo, s5, v1
	s_delay_alu instid0(VALU_DEP_3) | instskip(NEXT) | instid1(VALU_DEP_3)
	v_cndmask_b32_e32 v2, v2, v3, vcc_lo
	v_dual_cndmask_b32 v1, v1, v4, vcc_lo :: v_dual_bitop2_b32 v3, s12, v7 bitop3:0x14
	s_delay_alu instid0(VALU_DEP_2) | instskip(NEXT) | instid1(VALU_DEP_2)
	v_add_nc_u32_e32 v4, 1, v2
	v_cmp_le_u32_e32 vcc_lo, s5, v1
	s_delay_alu instid0(VALU_DEP_3) | instskip(NEXT) | instid1(VALU_DEP_3)
	v_dual_ashrrev_i32 v9, 31, v3 :: v_dual_mov_b32 v3, 0
	v_cndmask_b32_e32 v1, v2, v4, vcc_lo
	s_delay_alu instid0(VALU_DEP_1) | instskip(NEXT) | instid1(VALU_DEP_1)
	v_dual_mov_b32 v1, s3 :: v_dual_bitop2_b32 v10, v1, v9 bitop3:0x14
	v_sub_nc_u32_e32 v6, v10, v9
	flat_store_b32 v[0:1], v3 scope:SCOPE_SYS
	s_wait_storecnt 0x0
	v_add_nc_u32_e32 v2, s14, v6
	s_wait_xcnt 0x0
	s_delay_alu instid0(VALU_DEP_1)
	v_cmpx_gt_i32_e64 s13, v2
	s_cbranch_execz .LBB0_7
; %bb.1:
	s_load_b256 s[4:11], s[0:1], 0x10
	v_mul_lo_u32 v6, v6, s12
	s_wait_xcnt 0x0
	s_load_b64 s[0:1], s[0:1], 0x30
	s_delay_alu instid0(VALU_DEP_1) | instskip(SKIP_2) | instid1(VALU_DEP_1)
	v_sub_nc_u32_e32 v8, v7, v6
	v_ashrrev_i32_e32 v3, 31, v2
	s_wait_kmcnt 0x0
	v_lshl_add_u64 v[4:5], v[2:3], 2, s[4:5]
	s_mov_b32 s4, exec_lo
	global_load_b64 v[4:5], v[4:5], off
	s_wait_loadcnt 0x0
	v_add_nc_u32_e32 v6, v4, v8
	s_delay_alu instid0(VALU_DEP_1)
	v_cmpx_lt_i32_e64 v6, v5
	s_cbranch_execz .LBB0_4
; %bb.2:
	v_dual_add_nc_u32 v4, v7, v4 :: v_dual_sub_nc_u32 v9, v9, v10
	v_ashrrev_i32_e32 v7, 31, v6
	s_ashr_i32 s13, s12, 31
	s_mov_b32 s5, 0
	s_lshl_b64 s[2:3], s[12:13], 2
	v_mad_u32 v4, s12, v9, v4
	v_lshlrev_b64_e32 v[6:7], 2, v[6:7]
.LBB0_3:                                ; =>This Inner Loop Header: Depth=1
	s_delay_alu instid0(VALU_DEP_1)
	v_add_nc_u64_e32 v[10:11], s[6:7], v[6:7]
	global_load_b32 v9, v[10:11], off
	s_wait_xcnt 0x0
	v_add_nc_u64_e32 v[10:11], s[8:9], v[6:7]
	v_add_nc_u64_e32 v[6:7], s[2:3], v[6:7]
	global_load_b32 v12, v[10:11], off
	s_wait_loadcnt 0x1
	global_load_b32 v13, v9, s[10:11] scale_offset
	flat_load_b32 v14, v[0:1] scope:SCOPE_SYS
	s_wait_loadcnt_dscnt 0x0
	v_dual_add_nc_u32 v4, s12, v4 :: v_dual_fmac_f32 v14, v12, v13
	s_delay_alu instid0(VALU_DEP_1)
	v_cmp_ge_i32_e32 vcc_lo, v4, v5
	flat_store_b32 v[0:1], v14 scope:SCOPE_SYS
	s_wait_storecnt 0x0
	s_or_b32 s5, vcc_lo, s5
	s_wait_xcnt 0x0
	s_and_not1_b32 exec_lo, exec_lo, s5
	s_cbranch_execnz .LBB0_3
.LBB0_4:
	s_or_b32 exec_lo, exec_lo, s4
	s_cmp_lt_i32 s12, 2
	s_cbranch_scc0 .LBB0_9
.LBB0_5:
	v_cmp_eq_u32_e32 vcc_lo, 0, v8
	s_and_b32 exec_lo, exec_lo, vcc_lo
	s_cbranch_execz .LBB0_7
; %bb.6:
	flat_load_b32 v4, v[0:1] scope:SCOPE_SYS
	s_wait_loadcnt 0x0
	s_wait_xcnt 0x0
	v_lshl_add_u64 v[0:1], v[2:3], 2, s[0:1]
	s_wait_dscnt 0x0
	global_store_b32 v[0:1], v4, off
.LBB0_7:
	s_endpgm
.LBB0_8:                                ;   in Loop: Header=BB0_9 Depth=1
	s_wait_xcnt 0x0
	s_or_b32 exec_lo, exec_lo, s3
	s_cmp_gt_u32 s12, 3
	s_mov_b32 s12, s2
	s_cbranch_scc0 .LBB0_5
.LBB0_9:                                ; =>This Inner Loop Header: Depth=1
	s_lshr_b32 s2, s12, 1
	s_mov_b32 s3, exec_lo
	v_cmpx_gt_i32_e64 s2, v8
	s_cbranch_execz .LBB0_8
; %bb.10:                               ;   in Loop: Header=BB0_9 Depth=1
	s_mov_b64 s[4:5], src_shared_base
	v_lshl_add_u32 v4, s2, 2, v0
	v_mov_b32_e32 v5, s5
	flat_load_b32 v6, v[4:5] scope:SCOPE_SYS
	s_wait_loadcnt 0x0
	flat_load_b32 v7, v[0:1] scope:SCOPE_SYS
	s_wait_loadcnt_dscnt 0x0
	v_add_f32_e32 v4, v6, v7
	flat_store_b32 v[0:1], v4 scope:SCOPE_SYS
	s_wait_storecnt 0x0
	s_branch .LBB0_8
	.section	.rodata,"a",@progbits
	.p2align	6, 0x0
	.amdhsa_kernel _Z20warp_multiply_kernelIfEviiiPKiS1_PKT_S4_PS2_
		.amdhsa_group_segment_fixed_size 1024
		.amdhsa_private_segment_fixed_size 0
		.amdhsa_kernarg_size 312
		.amdhsa_user_sgpr_count 2
		.amdhsa_user_sgpr_dispatch_ptr 0
		.amdhsa_user_sgpr_queue_ptr 0
		.amdhsa_user_sgpr_kernarg_segment_ptr 1
		.amdhsa_user_sgpr_dispatch_id 0
		.amdhsa_user_sgpr_kernarg_preload_length 0
		.amdhsa_user_sgpr_kernarg_preload_offset 0
		.amdhsa_user_sgpr_private_segment_size 0
		.amdhsa_wavefront_size32 1
		.amdhsa_uses_dynamic_stack 0
		.amdhsa_enable_private_segment 0
		.amdhsa_system_sgpr_workgroup_id_x 1
		.amdhsa_system_sgpr_workgroup_id_y 0
		.amdhsa_system_sgpr_workgroup_id_z 0
		.amdhsa_system_sgpr_workgroup_info 0
		.amdhsa_system_vgpr_workitem_id 0
		.amdhsa_next_free_vgpr 15
		.amdhsa_next_free_sgpr 15
		.amdhsa_named_barrier_count 0
		.amdhsa_reserve_vcc 1
		.amdhsa_float_round_mode_32 0
		.amdhsa_float_round_mode_16_64 0
		.amdhsa_float_denorm_mode_32 3
		.amdhsa_float_denorm_mode_16_64 3
		.amdhsa_fp16_overflow 0
		.amdhsa_memory_ordered 1
		.amdhsa_forward_progress 1
		.amdhsa_inst_pref_size 6
		.amdhsa_round_robin_scheduling 0
		.amdhsa_exception_fp_ieee_invalid_op 0
		.amdhsa_exception_fp_denorm_src 0
		.amdhsa_exception_fp_ieee_div_zero 0
		.amdhsa_exception_fp_ieee_overflow 0
		.amdhsa_exception_fp_ieee_underflow 0
		.amdhsa_exception_fp_ieee_inexact 0
		.amdhsa_exception_int_div_zero 0
	.end_amdhsa_kernel
	.section	.text._Z20warp_multiply_kernelIfEviiiPKiS1_PKT_S4_PS2_,"axG",@progbits,_Z20warp_multiply_kernelIfEviiiPKiS1_PKT_S4_PS2_,comdat
.Lfunc_end0:
	.size	_Z20warp_multiply_kernelIfEviiiPKiS1_PKT_S4_PS2_, .Lfunc_end0-_Z20warp_multiply_kernelIfEviiiPKiS1_PKT_S4_PS2_
                                        ; -- End function
	.set _Z20warp_multiply_kernelIfEviiiPKiS1_PKT_S4_PS2_.num_vgpr, 15
	.set _Z20warp_multiply_kernelIfEviiiPKiS1_PKT_S4_PS2_.num_agpr, 0
	.set _Z20warp_multiply_kernelIfEviiiPKiS1_PKT_S4_PS2_.numbered_sgpr, 15
	.set _Z20warp_multiply_kernelIfEviiiPKiS1_PKT_S4_PS2_.num_named_barrier, 0
	.set _Z20warp_multiply_kernelIfEviiiPKiS1_PKT_S4_PS2_.private_seg_size, 0
	.set _Z20warp_multiply_kernelIfEviiiPKiS1_PKT_S4_PS2_.uses_vcc, 1
	.set _Z20warp_multiply_kernelIfEviiiPKiS1_PKT_S4_PS2_.uses_flat_scratch, 0
	.set _Z20warp_multiply_kernelIfEviiiPKiS1_PKT_S4_PS2_.has_dyn_sized_stack, 0
	.set _Z20warp_multiply_kernelIfEviiiPKiS1_PKT_S4_PS2_.has_recursion, 0
	.set _Z20warp_multiply_kernelIfEviiiPKiS1_PKT_S4_PS2_.has_indirect_call, 0
	.section	.AMDGPU.csdata,"",@progbits
; Kernel info:
; codeLenInByte = 764
; TotalNumSgprs: 17
; NumVgprs: 15
; ScratchSize: 0
; MemoryBound: 0
; FloatMode: 240
; IeeeMode: 1
; LDSByteSize: 1024 bytes/workgroup (compile time only)
; SGPRBlocks: 0
; VGPRBlocks: 0
; NumSGPRsForWavesPerEU: 17
; NumVGPRsForWavesPerEU: 15
; NamedBarCnt: 0
; Occupancy: 16
; WaveLimiterHint : 1
; COMPUTE_PGM_RSRC2:SCRATCH_EN: 0
; COMPUTE_PGM_RSRC2:USER_SGPR: 2
; COMPUTE_PGM_RSRC2:TRAP_HANDLER: 0
; COMPUTE_PGM_RSRC2:TGID_X_EN: 1
; COMPUTE_PGM_RSRC2:TGID_Y_EN: 0
; COMPUTE_PGM_RSRC2:TGID_Z_EN: 0
; COMPUTE_PGM_RSRC2:TIDIG_COMP_CNT: 0
	.section	.text._Z18dot_product_kernelIfEviPKT_S2_PS0_,"axG",@progbits,_Z18dot_product_kernelIfEviPKT_S2_PS0_,comdat
	.protected	_Z18dot_product_kernelIfEviPKT_S2_PS0_ ; -- Begin function _Z18dot_product_kernelIfEviPKT_S2_PS0_
	.globl	_Z18dot_product_kernelIfEviPKT_S2_PS0_
	.p2align	8
	.type	_Z18dot_product_kernelIfEviPKT_S2_PS0_,@function
_Z18dot_product_kernelIfEviPKT_S2_PS0_: ; @_Z18dot_product_kernelIfEviPKT_S2_PS0_
; %bb.0:
	s_clause 0x1
	s_load_b32 s8, s[0:1], 0x2c
	s_load_b64 s[2:3], s[0:1], 0x18
	s_bfe_u32 s4, ttmp6, 0x4000c
	s_and_b32 s5, ttmp6, 15
	s_add_co_i32 s4, s4, 1
	s_getreg_b32 s6, hwreg(HW_REG_IB_STS2, 6, 4)
	s_mul_i32 s4, ttmp9, s4
	s_load_b32 s9, s[0:1], 0x0
	s_add_co_i32 s10, s5, s4
	s_cmp_eq_u32 s6, 0
	s_load_b128 s[4:7], s[0:1], 0x8
	s_wait_xcnt 0x0
	s_cselect_b32 s0, ttmp9, s10
	v_mov_b32_e32 v2, 0
	s_wait_kmcnt 0x0
	s_and_b32 s1, s8, 0xffff
	s_delay_alu instid0(SALU_CYCLE_1) | instskip(SKIP_1) | instid1(VALU_DEP_1)
	v_mad_u32 v1, s0, s1, v0
	s_mov_b32 s1, exec_lo
	v_cmpx_gt_i32_e64 s9, v1
	s_cbranch_execz .LBB1_2
; %bb.1:
	s_clause 0x1
	global_load_b32 v2, v1, s[4:5] scale_offset
	global_load_b32 v3, v1, s[6:7] scale_offset
	s_wait_loadcnt 0x0
	v_mul_f32_e32 v2, v2, v3
.LBB1_2:
	s_or_b32 exec_lo, exec_lo, s1
	v_lshlrev_b32_e32 v1, 2, v0
	s_mov_b32 s1, exec_lo
	ds_store_b32 v1, v2
	s_wait_dscnt 0x0
	s_barrier_signal -1
	s_barrier_wait -1
	v_cmpx_gt_u32_e32 0x80, v0
	s_cbranch_execz .LBB1_4
; %bb.3:
	ds_load_2addr_stride64_b32 v[2:3], v1 offset1:2
	s_wait_dscnt 0x0
	v_add_f32_e32 v2, v3, v2
	ds_store_b32 v1, v2
.LBB1_4:
	s_or_b32 exec_lo, exec_lo, s1
	s_delay_alu instid0(SALU_CYCLE_1)
	s_mov_b32 s1, exec_lo
	s_wait_dscnt 0x0
	s_barrier_signal -1
	s_barrier_wait -1
	v_cmpx_gt_u32_e32 64, v0
	s_cbranch_execz .LBB1_6
; %bb.5:
	ds_load_2addr_stride64_b32 v[2:3], v1 offset1:1
	s_wait_dscnt 0x0
	v_add_f32_e32 v2, v3, v2
	ds_store_b32 v1, v2
.LBB1_6:
	s_or_b32 exec_lo, exec_lo, s1
	s_delay_alu instid0(SALU_CYCLE_1)
	s_mov_b32 s1, exec_lo
	s_wait_dscnt 0x0
	s_barrier_signal -1
	s_barrier_wait -1
	v_cmpx_gt_u32_e32 32, v0
	s_cbranch_execz .LBB1_8
; %bb.7:
	ds_load_2addr_b32 v[2:3], v1 offset1:32
	s_wait_dscnt 0x0
	v_add_f32_e32 v2, v3, v2
	ds_store_b32 v1, v2
.LBB1_8:
	s_or_b32 exec_lo, exec_lo, s1
	s_delay_alu instid0(SALU_CYCLE_1)
	s_mov_b32 s1, exec_lo
	s_wait_dscnt 0x0
	s_barrier_signal -1
	s_barrier_wait -1
	v_cmpx_gt_u32_e32 16, v0
	s_cbranch_execz .LBB1_10
; %bb.9:
	ds_load_2addr_b32 v[2:3], v1 offset1:16
	s_wait_dscnt 0x0
	v_add_f32_e32 v2, v3, v2
	ds_store_b32 v1, v2
.LBB1_10:
	;; [unrolled: 14-line block ×5, first 2 shown]
	s_or_b32 exec_lo, exec_lo, s1
	v_cmp_eq_u32_e32 vcc_lo, 0, v0
	s_wait_dscnt 0x0
	s_barrier_signal -1
	s_barrier_wait -1
	s_and_saveexec_b32 s1, vcc_lo
	s_cbranch_execz .LBB1_18
; %bb.17:
	ds_load_2addr_b32 v[2:3], v1 offset1:1
	s_wait_dscnt 0x0
	v_add_f32_e32 v0, v3, v2
	ds_store_b32 v1, v0
.LBB1_18:
	s_or_b32 exec_lo, exec_lo, s1
	s_wait_dscnt 0x0
	s_barrier_signal -1
	s_barrier_wait -1
	s_and_saveexec_b32 s1, vcc_lo
	s_cbranch_execz .LBB1_20
; %bb.19:
	v_dual_mov_b32 v0, 0 :: v_dual_mov_b32 v1, s0
	ds_load_b32 v0, v0
	s_wait_dscnt 0x0
	global_store_b32 v1, v0, s[2:3] scale_offset
.LBB1_20:
	s_endpgm
	.section	.rodata,"a",@progbits
	.p2align	6, 0x0
	.amdhsa_kernel _Z18dot_product_kernelIfEviPKT_S2_PS0_
		.amdhsa_group_segment_fixed_size 1024
		.amdhsa_private_segment_fixed_size 0
		.amdhsa_kernarg_size 288
		.amdhsa_user_sgpr_count 2
		.amdhsa_user_sgpr_dispatch_ptr 0
		.amdhsa_user_sgpr_queue_ptr 0
		.amdhsa_user_sgpr_kernarg_segment_ptr 1
		.amdhsa_user_sgpr_dispatch_id 0
		.amdhsa_user_sgpr_kernarg_preload_length 0
		.amdhsa_user_sgpr_kernarg_preload_offset 0
		.amdhsa_user_sgpr_private_segment_size 0
		.amdhsa_wavefront_size32 1
		.amdhsa_uses_dynamic_stack 0
		.amdhsa_enable_private_segment 0
		.amdhsa_system_sgpr_workgroup_id_x 1
		.amdhsa_system_sgpr_workgroup_id_y 0
		.amdhsa_system_sgpr_workgroup_id_z 0
		.amdhsa_system_sgpr_workgroup_info 0
		.amdhsa_system_vgpr_workitem_id 0
		.amdhsa_next_free_vgpr 4
		.amdhsa_next_free_sgpr 11
		.amdhsa_named_barrier_count 0
		.amdhsa_reserve_vcc 1
		.amdhsa_float_round_mode_32 0
		.amdhsa_float_round_mode_16_64 0
		.amdhsa_float_denorm_mode_32 3
		.amdhsa_float_denorm_mode_16_64 3
		.amdhsa_fp16_overflow 0
		.amdhsa_memory_ordered 1
		.amdhsa_forward_progress 1
		.amdhsa_inst_pref_size 6
		.amdhsa_round_robin_scheduling 0
		.amdhsa_exception_fp_ieee_invalid_op 0
		.amdhsa_exception_fp_denorm_src 0
		.amdhsa_exception_fp_ieee_div_zero 0
		.amdhsa_exception_fp_ieee_overflow 0
		.amdhsa_exception_fp_ieee_underflow 0
		.amdhsa_exception_fp_ieee_inexact 0
		.amdhsa_exception_int_div_zero 0
	.end_amdhsa_kernel
	.section	.text._Z18dot_product_kernelIfEviPKT_S2_PS0_,"axG",@progbits,_Z18dot_product_kernelIfEviPKT_S2_PS0_,comdat
.Lfunc_end1:
	.size	_Z18dot_product_kernelIfEviPKT_S2_PS0_, .Lfunc_end1-_Z18dot_product_kernelIfEviPKT_S2_PS0_
                                        ; -- End function
	.set _Z18dot_product_kernelIfEviPKT_S2_PS0_.num_vgpr, 4
	.set _Z18dot_product_kernelIfEviPKT_S2_PS0_.num_agpr, 0
	.set _Z18dot_product_kernelIfEviPKT_S2_PS0_.numbered_sgpr, 11
	.set _Z18dot_product_kernelIfEviPKT_S2_PS0_.num_named_barrier, 0
	.set _Z18dot_product_kernelIfEviPKT_S2_PS0_.private_seg_size, 0
	.set _Z18dot_product_kernelIfEviPKT_S2_PS0_.uses_vcc, 1
	.set _Z18dot_product_kernelIfEviPKT_S2_PS0_.uses_flat_scratch, 0
	.set _Z18dot_product_kernelIfEviPKT_S2_PS0_.has_dyn_sized_stack, 0
	.set _Z18dot_product_kernelIfEviPKT_S2_PS0_.has_recursion, 0
	.set _Z18dot_product_kernelIfEviPKT_S2_PS0_.has_indirect_call, 0
	.section	.AMDGPU.csdata,"",@progbits
; Kernel info:
; codeLenInByte = 672
; TotalNumSgprs: 13
; NumVgprs: 4
; ScratchSize: 0
; MemoryBound: 0
; FloatMode: 240
; IeeeMode: 1
; LDSByteSize: 1024 bytes/workgroup (compile time only)
; SGPRBlocks: 0
; VGPRBlocks: 0
; NumSGPRsForWavesPerEU: 13
; NumVGPRsForWavesPerEU: 4
; NamedBarCnt: 0
; Occupancy: 16
; WaveLimiterHint : 0
; COMPUTE_PGM_RSRC2:SCRATCH_EN: 0
; COMPUTE_PGM_RSRC2:USER_SGPR: 2
; COMPUTE_PGM_RSRC2:TRAP_HANDLER: 0
; COMPUTE_PGM_RSRC2:TGID_X_EN: 1
; COMPUTE_PGM_RSRC2:TGID_Y_EN: 0
; COMPUTE_PGM_RSRC2:TGID_Z_EN: 0
; COMPUTE_PGM_RSRC2:TIDIG_COMP_CNT: 0
	.section	.text._Z20saxpy_inplace_kernelIfEviPT_PKS0_S0_,"axG",@progbits,_Z20saxpy_inplace_kernelIfEviPT_PKS0_S0_,comdat
	.protected	_Z20saxpy_inplace_kernelIfEviPT_PKS0_S0_ ; -- Begin function _Z20saxpy_inplace_kernelIfEviPT_PKS0_S0_
	.globl	_Z20saxpy_inplace_kernelIfEviPT_PKS0_S0_
	.p2align	8
	.type	_Z20saxpy_inplace_kernelIfEviPT_PKS0_S0_,@function
_Z20saxpy_inplace_kernelIfEviPT_PKS0_S0_: ; @_Z20saxpy_inplace_kernelIfEviPT_PKS0_S0_
; %bb.0:
	s_clause 0x1
	s_load_b32 s2, s[0:1], 0x2c
	s_load_b32 s3, s[0:1], 0x0
	s_bfe_u32 s4, ttmp6, 0x4000c
	s_and_b32 s5, ttmp6, 15
	s_add_co_i32 s4, s4, 1
	s_getreg_b32 s6, hwreg(HW_REG_IB_STS2, 6, 4)
	s_mul_i32 s4, ttmp9, s4
	s_delay_alu instid0(SALU_CYCLE_1) | instskip(SKIP_4) | instid1(SALU_CYCLE_1)
	s_add_co_i32 s5, s5, s4
	s_wait_kmcnt 0x0
	s_and_b32 s2, s2, 0xffff
	s_cmp_eq_u32 s6, 0
	s_cselect_b32 s4, ttmp9, s5
	v_mad_u32 v0, s4, s2, v0
	s_mov_b32 s2, exec_lo
	s_delay_alu instid0(VALU_DEP_1)
	v_cmpx_gt_i32_e64 s3, v0
	s_cbranch_execz .LBB2_2
; %bb.1:
	s_clause 0x1
	s_load_b128 s[4:7], s[0:1], 0x8
	s_load_b32 s2, s[0:1], 0x18
	s_wait_kmcnt 0x0
	s_clause 0x1
	global_load_b32 v1, v0, s[6:7] scale_offset
	global_load_b32 v2, v0, s[4:5] scale_offset
	s_wait_loadcnt 0x0
	v_fmac_f32_e32 v2, s2, v1
	global_store_b32 v0, v2, s[4:5] scale_offset
.LBB2_2:
	s_endpgm
	.section	.rodata,"a",@progbits
	.p2align	6, 0x0
	.amdhsa_kernel _Z20saxpy_inplace_kernelIfEviPT_PKS0_S0_
		.amdhsa_group_segment_fixed_size 0
		.amdhsa_private_segment_fixed_size 0
		.amdhsa_kernarg_size 288
		.amdhsa_user_sgpr_count 2
		.amdhsa_user_sgpr_dispatch_ptr 0
		.amdhsa_user_sgpr_queue_ptr 0
		.amdhsa_user_sgpr_kernarg_segment_ptr 1
		.amdhsa_user_sgpr_dispatch_id 0
		.amdhsa_user_sgpr_kernarg_preload_length 0
		.amdhsa_user_sgpr_kernarg_preload_offset 0
		.amdhsa_user_sgpr_private_segment_size 0
		.amdhsa_wavefront_size32 1
		.amdhsa_uses_dynamic_stack 0
		.amdhsa_enable_private_segment 0
		.amdhsa_system_sgpr_workgroup_id_x 1
		.amdhsa_system_sgpr_workgroup_id_y 0
		.amdhsa_system_sgpr_workgroup_id_z 0
		.amdhsa_system_sgpr_workgroup_info 0
		.amdhsa_system_vgpr_workitem_id 0
		.amdhsa_next_free_vgpr 3
		.amdhsa_next_free_sgpr 8
		.amdhsa_named_barrier_count 0
		.amdhsa_reserve_vcc 0
		.amdhsa_float_round_mode_32 0
		.amdhsa_float_round_mode_16_64 0
		.amdhsa_float_denorm_mode_32 3
		.amdhsa_float_denorm_mode_16_64 3
		.amdhsa_fp16_overflow 0
		.amdhsa_memory_ordered 1
		.amdhsa_forward_progress 1
		.amdhsa_inst_pref_size 2
		.amdhsa_round_robin_scheduling 0
		.amdhsa_exception_fp_ieee_invalid_op 0
		.amdhsa_exception_fp_denorm_src 0
		.amdhsa_exception_fp_ieee_div_zero 0
		.amdhsa_exception_fp_ieee_overflow 0
		.amdhsa_exception_fp_ieee_underflow 0
		.amdhsa_exception_fp_ieee_inexact 0
		.amdhsa_exception_int_div_zero 0
	.end_amdhsa_kernel
	.section	.text._Z20saxpy_inplace_kernelIfEviPT_PKS0_S0_,"axG",@progbits,_Z20saxpy_inplace_kernelIfEviPT_PKS0_S0_,comdat
.Lfunc_end2:
	.size	_Z20saxpy_inplace_kernelIfEviPT_PKS0_S0_, .Lfunc_end2-_Z20saxpy_inplace_kernelIfEviPT_PKS0_S0_
                                        ; -- End function
	.set _Z20saxpy_inplace_kernelIfEviPT_PKS0_S0_.num_vgpr, 3
	.set _Z20saxpy_inplace_kernelIfEviPT_PKS0_S0_.num_agpr, 0
	.set _Z20saxpy_inplace_kernelIfEviPT_PKS0_S0_.numbered_sgpr, 8
	.set _Z20saxpy_inplace_kernelIfEviPT_PKS0_S0_.num_named_barrier, 0
	.set _Z20saxpy_inplace_kernelIfEviPT_PKS0_S0_.private_seg_size, 0
	.set _Z20saxpy_inplace_kernelIfEviPT_PKS0_S0_.uses_vcc, 0
	.set _Z20saxpy_inplace_kernelIfEviPT_PKS0_S0_.uses_flat_scratch, 0
	.set _Z20saxpy_inplace_kernelIfEviPT_PKS0_S0_.has_dyn_sized_stack, 0
	.set _Z20saxpy_inplace_kernelIfEviPT_PKS0_S0_.has_recursion, 0
	.set _Z20saxpy_inplace_kernelIfEviPT_PKS0_S0_.has_indirect_call, 0
	.section	.AMDGPU.csdata,"",@progbits
; Kernel info:
; codeLenInByte = 176
; TotalNumSgprs: 8
; NumVgprs: 3
; ScratchSize: 0
; MemoryBound: 0
; FloatMode: 240
; IeeeMode: 1
; LDSByteSize: 0 bytes/workgroup (compile time only)
; SGPRBlocks: 0
; VGPRBlocks: 0
; NumSGPRsForWavesPerEU: 8
; NumVGPRsForWavesPerEU: 3
; NamedBarCnt: 0
; Occupancy: 16
; WaveLimiterHint : 0
; COMPUTE_PGM_RSRC2:SCRATCH_EN: 0
; COMPUTE_PGM_RSRC2:USER_SGPR: 2
; COMPUTE_PGM_RSRC2:TRAP_HANDLER: 0
; COMPUTE_PGM_RSRC2:TGID_X_EN: 1
; COMPUTE_PGM_RSRC2:TGID_Y_EN: 0
; COMPUTE_PGM_RSRC2:TGID_Z_EN: 0
; COMPUTE_PGM_RSRC2:TIDIG_COMP_CNT: 0
	.section	.text._Z23multiply_inplace_kernelIfEviPT_S0_,"axG",@progbits,_Z23multiply_inplace_kernelIfEviPT_S0_,comdat
	.protected	_Z23multiply_inplace_kernelIfEviPT_S0_ ; -- Begin function _Z23multiply_inplace_kernelIfEviPT_S0_
	.globl	_Z23multiply_inplace_kernelIfEviPT_S0_
	.p2align	8
	.type	_Z23multiply_inplace_kernelIfEviPT_S0_,@function
_Z23multiply_inplace_kernelIfEviPT_S0_: ; @_Z23multiply_inplace_kernelIfEviPT_S0_
; %bb.0:
	s_clause 0x1
	s_load_b32 s2, s[0:1], 0x24
	s_load_b32 s3, s[0:1], 0x0
	s_bfe_u32 s4, ttmp6, 0x4000c
	s_and_b32 s5, ttmp6, 15
	s_add_co_i32 s4, s4, 1
	s_getreg_b32 s6, hwreg(HW_REG_IB_STS2, 6, 4)
	s_mul_i32 s4, ttmp9, s4
	s_delay_alu instid0(SALU_CYCLE_1) | instskip(SKIP_4) | instid1(SALU_CYCLE_1)
	s_add_co_i32 s5, s5, s4
	s_wait_kmcnt 0x0
	s_and_b32 s2, s2, 0xffff
	s_cmp_eq_u32 s6, 0
	s_cselect_b32 s4, ttmp9, s5
	v_mad_u32 v0, s4, s2, v0
	s_mov_b32 s2, exec_lo
	s_delay_alu instid0(VALU_DEP_1)
	v_cmpx_gt_i32_e64 s3, v0
	s_cbranch_execz .LBB3_2
; %bb.1:
	s_load_b96 s[4:6], s[0:1], 0x8
	s_wait_kmcnt 0x0
	global_load_b32 v1, v0, s[4:5] scale_offset
	s_wait_loadcnt 0x0
	v_mul_f32_e32 v1, s6, v1
	global_store_b32 v0, v1, s[4:5] scale_offset
.LBB3_2:
	s_endpgm
	.section	.rodata,"a",@progbits
	.p2align	6, 0x0
	.amdhsa_kernel _Z23multiply_inplace_kernelIfEviPT_S0_
		.amdhsa_group_segment_fixed_size 0
		.amdhsa_private_segment_fixed_size 0
		.amdhsa_kernarg_size 280
		.amdhsa_user_sgpr_count 2
		.amdhsa_user_sgpr_dispatch_ptr 0
		.amdhsa_user_sgpr_queue_ptr 0
		.amdhsa_user_sgpr_kernarg_segment_ptr 1
		.amdhsa_user_sgpr_dispatch_id 0
		.amdhsa_user_sgpr_kernarg_preload_length 0
		.amdhsa_user_sgpr_kernarg_preload_offset 0
		.amdhsa_user_sgpr_private_segment_size 0
		.amdhsa_wavefront_size32 1
		.amdhsa_uses_dynamic_stack 0
		.amdhsa_enable_private_segment 0
		.amdhsa_system_sgpr_workgroup_id_x 1
		.amdhsa_system_sgpr_workgroup_id_y 0
		.amdhsa_system_sgpr_workgroup_id_z 0
		.amdhsa_system_sgpr_workgroup_info 0
		.amdhsa_system_vgpr_workitem_id 0
		.amdhsa_next_free_vgpr 2
		.amdhsa_next_free_sgpr 7
		.amdhsa_named_barrier_count 0
		.amdhsa_reserve_vcc 0
		.amdhsa_float_round_mode_32 0
		.amdhsa_float_round_mode_16_64 0
		.amdhsa_float_denorm_mode_32 3
		.amdhsa_float_denorm_mode_16_64 3
		.amdhsa_fp16_overflow 0
		.amdhsa_memory_ordered 1
		.amdhsa_forward_progress 1
		.amdhsa_inst_pref_size 2
		.amdhsa_round_robin_scheduling 0
		.amdhsa_exception_fp_ieee_invalid_op 0
		.amdhsa_exception_fp_denorm_src 0
		.amdhsa_exception_fp_ieee_div_zero 0
		.amdhsa_exception_fp_ieee_overflow 0
		.amdhsa_exception_fp_ieee_underflow 0
		.amdhsa_exception_fp_ieee_inexact 0
		.amdhsa_exception_int_div_zero 0
	.end_amdhsa_kernel
	.section	.text._Z23multiply_inplace_kernelIfEviPT_S0_,"axG",@progbits,_Z23multiply_inplace_kernelIfEviPT_S0_,comdat
.Lfunc_end3:
	.size	_Z23multiply_inplace_kernelIfEviPT_S0_, .Lfunc_end3-_Z23multiply_inplace_kernelIfEviPT_S0_
                                        ; -- End function
	.set _Z23multiply_inplace_kernelIfEviPT_S0_.num_vgpr, 2
	.set _Z23multiply_inplace_kernelIfEviPT_S0_.num_agpr, 0
	.set _Z23multiply_inplace_kernelIfEviPT_S0_.numbered_sgpr, 7
	.set _Z23multiply_inplace_kernelIfEviPT_S0_.num_named_barrier, 0
	.set _Z23multiply_inplace_kernelIfEviPT_S0_.private_seg_size, 0
	.set _Z23multiply_inplace_kernelIfEviPT_S0_.uses_vcc, 0
	.set _Z23multiply_inplace_kernelIfEviPT_S0_.uses_flat_scratch, 0
	.set _Z23multiply_inplace_kernelIfEviPT_S0_.has_dyn_sized_stack, 0
	.set _Z23multiply_inplace_kernelIfEviPT_S0_.has_recursion, 0
	.set _Z23multiply_inplace_kernelIfEviPT_S0_.has_indirect_call, 0
	.section	.AMDGPU.csdata,"",@progbits
; Kernel info:
; codeLenInByte = 148
; TotalNumSgprs: 7
; NumVgprs: 2
; ScratchSize: 0
; MemoryBound: 0
; FloatMode: 240
; IeeeMode: 1
; LDSByteSize: 0 bytes/workgroup (compile time only)
; SGPRBlocks: 0
; VGPRBlocks: 0
; NumSGPRsForWavesPerEU: 7
; NumVGPRsForWavesPerEU: 2
; NamedBarCnt: 0
; Occupancy: 16
; WaveLimiterHint : 0
; COMPUTE_PGM_RSRC2:SCRATCH_EN: 0
; COMPUTE_PGM_RSRC2:USER_SGPR: 2
; COMPUTE_PGM_RSRC2:TRAP_HANDLER: 0
; COMPUTE_PGM_RSRC2:TGID_X_EN: 1
; COMPUTE_PGM_RSRC2:TGID_Y_EN: 0
; COMPUTE_PGM_RSRC2:TGID_Z_EN: 0
; COMPUTE_PGM_RSRC2:TIDIG_COMP_CNT: 0
	.section	.text._Z20warp_multiply_kernelIdEviiiPKiS1_PKT_S4_PS2_,"axG",@progbits,_Z20warp_multiply_kernelIdEviiiPKiS1_PKT_S4_PS2_,comdat
	.protected	_Z20warp_multiply_kernelIdEviiiPKiS1_PKT_S4_PS2_ ; -- Begin function _Z20warp_multiply_kernelIdEviiiPKiS1_PKT_S4_PS2_
	.globl	_Z20warp_multiply_kernelIdEviiiPKiS1_PKT_S4_PS2_
	.p2align	8
	.type	_Z20warp_multiply_kernelIdEviiiPKiS1_PKT_S4_PS2_,@function
_Z20warp_multiply_kernelIdEviiiPKiS1_PKT_S4_PS2_: ; @_Z20warp_multiply_kernelIdEviiiPKiS1_PKT_S4_PS2_
; %bb.0:
	s_mov_b64 s[2:3], src_shared_base
	s_clause 0x1
	s_load_b32 s2, s[0:1], 0x44
	s_load_b96 s[12:14], s[0:1], 0x0
	s_bfe_u32 s4, ttmp6, 0x4000c
	s_and_b32 s5, ttmp6, 15
	s_add_co_i32 s4, s4, 1
	s_getreg_b32 s6, hwreg(HW_REG_IB_STS2, 6, 4)
	s_mul_i32 s4, ttmp9, s4
	s_delay_alu instid0(SALU_CYCLE_1)
	s_add_co_i32 s5, s5, s4
	s_wait_kmcnt 0x0
	s_and_b32 s2, s2, 0xffff
	s_cmp_eq_u32 s6, 0
	s_cselect_b32 s4, ttmp9, s5
	s_abs_i32 s5, s12
	v_mad_u32 v6, s4, s2, v0
	s_cvt_f32_u32 s6, s5
	s_sub_co_i32 s4, 0, s5
	v_lshlrev_b32_e32 v0, 3, v0
	s_delay_alu instid0(SALU_CYCLE_1) | instskip(SKIP_1) | instid1(TRANS32_DEP_1)
	v_rcp_iflag_f32_e32 v1, s6
	v_nop
	v_readfirstlane_b32 s2, v1
	s_delay_alu instid0(VALU_DEP_4) | instskip(SKIP_1) | instid1(VALU_DEP_1)
	v_sub_nc_u32_e32 v1, 0, v6
	s_mul_f32 s2, s2, 0x4f7ffffe
	v_max_i32_e32 v1, v6, v1
	s_delay_alu instid0(SALU_CYCLE_2) | instskip(NEXT) | instid1(SALU_CYCLE_3)
	s_cvt_u32_f32 s2, s2
	s_mul_i32 s4, s4, s2
	s_delay_alu instid0(SALU_CYCLE_1) | instskip(NEXT) | instid1(SALU_CYCLE_1)
	s_mul_hi_u32 s4, s2, s4
	s_add_co_i32 s2, s2, s4
	s_delay_alu instid0(SALU_CYCLE_1) | instskip(SKIP_1) | instid1(VALU_DEP_1)
	v_mul_hi_u32 v2, v1, s2
	s_mov_b32 s2, exec_lo
	v_mul_lo_u32 v3, v2, s5
	s_delay_alu instid0(VALU_DEP_1) | instskip(NEXT) | instid1(VALU_DEP_1)
	v_dual_sub_nc_u32 v1, v1, v3 :: v_dual_add_nc_u32 v3, 1, v2
	v_cmp_le_u32_e32 vcc_lo, s5, v1
	s_delay_alu instid0(VALU_DEP_2) | instskip(SKIP_1) | instid1(VALU_DEP_1)
	v_dual_cndmask_b32 v2, v2, v3, vcc_lo :: v_dual_bitop2_b32 v3, s12, v6 bitop3:0x14
	v_subrev_nc_u32_e32 v4, s5, v1
	v_dual_cndmask_b32 v1, v1, v4 :: v_dual_add_nc_u32 v4, 1, v2
	s_delay_alu instid0(VALU_DEP_1) | instskip(NEXT) | instid1(VALU_DEP_2)
	v_cmp_le_u32_e32 vcc_lo, s5, v1
	v_dual_ashrrev_i32 v7, 31, v3 :: v_dual_cndmask_b32 v1, v2, v4, vcc_lo
	v_mov_b64_e32 v[4:5], 0
	s_delay_alu instid0(VALU_DEP_2) | instskip(NEXT) | instid1(VALU_DEP_1)
	v_dual_mov_b32 v1, s3 :: v_dual_bitop2_b32 v9, v1, v7 bitop3:0x14
	v_sub_nc_u32_e32 v8, v9, v7
	flat_store_b64 v[0:1], v[4:5] scope:SCOPE_SYS
	s_wait_storecnt 0x0
	v_add_nc_u32_e32 v2, s14, v8
	s_wait_xcnt 0x0
	s_delay_alu instid0(VALU_DEP_1)
	v_cmpx_gt_i32_e64 s13, v2
	s_cbranch_execz .LBB4_7
; %bb.1:
	s_load_b256 s[4:11], s[0:1], 0x10
	v_mul_lo_u32 v8, v8, s12
	v_ashrrev_i32_e32 v3, 31, v2
	s_wait_xcnt 0x0
	s_load_b64 s[0:1], s[0:1], 0x30
	s_mov_b32 s14, exec_lo
	s_delay_alu instid0(VALU_DEP_2)
	v_sub_nc_u32_e32 v10, v6, v8
	s_wait_kmcnt 0x0
	v_lshl_add_u64 v[4:5], v[2:3], 2, s[4:5]
	global_load_b64 v[4:5], v[4:5], off
	s_wait_loadcnt 0x0
	v_add_nc_u32_e32 v8, v4, v10
	s_delay_alu instid0(VALU_DEP_1)
	v_cmpx_lt_i32_e64 v8, v5
	s_cbranch_execz .LBB4_4
; %bb.2:
	v_dual_add_nc_u32 v4, v6, v4 :: v_dual_sub_nc_u32 v6, v7, v9
	v_ashrrev_i32_e32 v9, 31, v8
	s_ashr_i32 s13, s12, 31
	s_delay_alu instid0(SALU_CYCLE_1) | instskip(NEXT) | instid1(VALU_DEP_2)
	s_lshl_b64 s[2:3], s[12:13], 3
	v_mad_u32 v4, s12, v6, v4
	s_delay_alu instid0(VALU_DEP_2)
	v_lshl_add_u64 v[6:7], v[8:9], 3, s[8:9]
	v_lshl_add_u64 v[8:9], v[8:9], 2, s[6:7]
	s_lshl_b64 s[4:5], s[12:13], 2
	s_mov_b32 s6, 0
.LBB4_3:                                ; =>This Inner Loop Header: Depth=1
	global_load_b32 v11, v[8:9], off
	global_load_b64 v[12:13], v[6:7], off
	v_add_nc_u32_e32 v4, s12, v4
	s_wait_xcnt 0x0
	v_add_nc_u64_e32 v[6:7], s[2:3], v[6:7]
	v_add_nc_u64_e32 v[8:9], s[4:5], v[8:9]
	s_wait_loadcnt 0x1
	global_load_b64 v[14:15], v11, s[10:11] scale_offset
	flat_load_b64 v[16:17], v[0:1] scope:SCOPE_SYS
	s_wait_loadcnt 0x0
	v_cmp_ge_i32_e32 vcc_lo, v4, v5
	s_or_b32 s6, vcc_lo, s6
	s_wait_dscnt 0x0
	v_fmac_f64_e32 v[16:17], v[12:13], v[14:15]
	flat_store_b64 v[0:1], v[16:17] scope:SCOPE_SYS
	s_wait_storecnt 0x0
	s_wait_xcnt 0x0
	s_and_not1_b32 exec_lo, exec_lo, s6
	s_cbranch_execnz .LBB4_3
.LBB4_4:
	s_or_b32 exec_lo, exec_lo, s14
	s_cmp_lt_i32 s12, 2
	s_cbranch_scc0 .LBB4_9
.LBB4_5:
	v_cmp_eq_u32_e32 vcc_lo, 0, v10
	s_and_b32 exec_lo, exec_lo, vcc_lo
	s_cbranch_execz .LBB4_7
; %bb.6:
	flat_load_b64 v[0:1], v[0:1] scope:SCOPE_SYS
	s_wait_loadcnt 0x0
	v_lshl_add_u64 v[2:3], v[2:3], 3, s[0:1]
	s_wait_dscnt 0x0
	global_store_b64 v[2:3], v[0:1], off
.LBB4_7:
	s_endpgm
.LBB4_8:                                ;   in Loop: Header=BB4_9 Depth=1
	s_wait_xcnt 0x0
	s_or_b32 exec_lo, exec_lo, s3
	s_cmp_gt_u32 s12, 3
	s_mov_b32 s12, s2
	s_cbranch_scc0 .LBB4_5
.LBB4_9:                                ; =>This Inner Loop Header: Depth=1
	s_lshr_b32 s2, s12, 1
	s_mov_b32 s3, exec_lo
	v_cmpx_gt_i32_e64 s2, v10
	s_cbranch_execz .LBB4_8
; %bb.10:                               ;   in Loop: Header=BB4_9 Depth=1
	s_mov_b64 s[4:5], src_shared_base
	v_lshl_add_u32 v4, s2, 3, v0
	v_mov_b32_e32 v5, s5
	flat_load_b64 v[6:7], v[4:5] scope:SCOPE_SYS
	s_wait_loadcnt 0x0
	flat_load_b64 v[8:9], v[0:1] scope:SCOPE_SYS
	s_wait_loadcnt_dscnt 0x0
	v_add_f64_e32 v[4:5], v[6:7], v[8:9]
	flat_store_b64 v[0:1], v[4:5] scope:SCOPE_SYS
	s_wait_storecnt 0x0
	s_branch .LBB4_8
	.section	.rodata,"a",@progbits
	.p2align	6, 0x0
	.amdhsa_kernel _Z20warp_multiply_kernelIdEviiiPKiS1_PKT_S4_PS2_
		.amdhsa_group_segment_fixed_size 2048
		.amdhsa_private_segment_fixed_size 0
		.amdhsa_kernarg_size 312
		.amdhsa_user_sgpr_count 2
		.amdhsa_user_sgpr_dispatch_ptr 0
		.amdhsa_user_sgpr_queue_ptr 0
		.amdhsa_user_sgpr_kernarg_segment_ptr 1
		.amdhsa_user_sgpr_dispatch_id 0
		.amdhsa_user_sgpr_kernarg_preload_length 0
		.amdhsa_user_sgpr_kernarg_preload_offset 0
		.amdhsa_user_sgpr_private_segment_size 0
		.amdhsa_wavefront_size32 1
		.amdhsa_uses_dynamic_stack 0
		.amdhsa_enable_private_segment 0
		.amdhsa_system_sgpr_workgroup_id_x 1
		.amdhsa_system_sgpr_workgroup_id_y 0
		.amdhsa_system_sgpr_workgroup_id_z 0
		.amdhsa_system_sgpr_workgroup_info 0
		.amdhsa_system_vgpr_workitem_id 0
		.amdhsa_next_free_vgpr 18
		.amdhsa_next_free_sgpr 15
		.amdhsa_named_barrier_count 0
		.amdhsa_reserve_vcc 1
		.amdhsa_float_round_mode_32 0
		.amdhsa_float_round_mode_16_64 0
		.amdhsa_float_denorm_mode_32 3
		.amdhsa_float_denorm_mode_16_64 3
		.amdhsa_fp16_overflow 0
		.amdhsa_memory_ordered 1
		.amdhsa_forward_progress 1
		.amdhsa_inst_pref_size 6
		.amdhsa_round_robin_scheduling 0
		.amdhsa_exception_fp_ieee_invalid_op 0
		.amdhsa_exception_fp_denorm_src 0
		.amdhsa_exception_fp_ieee_div_zero 0
		.amdhsa_exception_fp_ieee_overflow 0
		.amdhsa_exception_fp_ieee_underflow 0
		.amdhsa_exception_fp_ieee_inexact 0
		.amdhsa_exception_int_div_zero 0
	.end_amdhsa_kernel
	.section	.text._Z20warp_multiply_kernelIdEviiiPKiS1_PKT_S4_PS2_,"axG",@progbits,_Z20warp_multiply_kernelIdEviiiPKiS1_PKT_S4_PS2_,comdat
.Lfunc_end4:
	.size	_Z20warp_multiply_kernelIdEviiiPKiS1_PKT_S4_PS2_, .Lfunc_end4-_Z20warp_multiply_kernelIdEviiiPKiS1_PKT_S4_PS2_
                                        ; -- End function
	.set _Z20warp_multiply_kernelIdEviiiPKiS1_PKT_S4_PS2_.num_vgpr, 18
	.set _Z20warp_multiply_kernelIdEviiiPKiS1_PKT_S4_PS2_.num_agpr, 0
	.set _Z20warp_multiply_kernelIdEviiiPKiS1_PKT_S4_PS2_.numbered_sgpr, 15
	.set _Z20warp_multiply_kernelIdEviiiPKiS1_PKT_S4_PS2_.num_named_barrier, 0
	.set _Z20warp_multiply_kernelIdEviiiPKiS1_PKT_S4_PS2_.private_seg_size, 0
	.set _Z20warp_multiply_kernelIdEviiiPKiS1_PKT_S4_PS2_.uses_vcc, 1
	.set _Z20warp_multiply_kernelIdEviiiPKiS1_PKT_S4_PS2_.uses_flat_scratch, 0
	.set _Z20warp_multiply_kernelIdEviiiPKiS1_PKT_S4_PS2_.has_dyn_sized_stack, 0
	.set _Z20warp_multiply_kernelIdEviiiPKiS1_PKT_S4_PS2_.has_recursion, 0
	.set _Z20warp_multiply_kernelIdEviiiPKiS1_PKT_S4_PS2_.has_indirect_call, 0
	.section	.AMDGPU.csdata,"",@progbits
; Kernel info:
; codeLenInByte = 768
; TotalNumSgprs: 17
; NumVgprs: 18
; ScratchSize: 0
; MemoryBound: 1
; FloatMode: 240
; IeeeMode: 1
; LDSByteSize: 2048 bytes/workgroup (compile time only)
; SGPRBlocks: 0
; VGPRBlocks: 1
; NumSGPRsForWavesPerEU: 17
; NumVGPRsForWavesPerEU: 18
; NamedBarCnt: 0
; Occupancy: 16
; WaveLimiterHint : 1
; COMPUTE_PGM_RSRC2:SCRATCH_EN: 0
; COMPUTE_PGM_RSRC2:USER_SGPR: 2
; COMPUTE_PGM_RSRC2:TRAP_HANDLER: 0
; COMPUTE_PGM_RSRC2:TGID_X_EN: 1
; COMPUTE_PGM_RSRC2:TGID_Y_EN: 0
; COMPUTE_PGM_RSRC2:TGID_Z_EN: 0
; COMPUTE_PGM_RSRC2:TIDIG_COMP_CNT: 0
	.section	.text._Z18dot_product_kernelIdEviPKT_S2_PS0_,"axG",@progbits,_Z18dot_product_kernelIdEviPKT_S2_PS0_,comdat
	.protected	_Z18dot_product_kernelIdEviPKT_S2_PS0_ ; -- Begin function _Z18dot_product_kernelIdEviPKT_S2_PS0_
	.globl	_Z18dot_product_kernelIdEviPKT_S2_PS0_
	.p2align	8
	.type	_Z18dot_product_kernelIdEviPKT_S2_PS0_,@function
_Z18dot_product_kernelIdEviPKT_S2_PS0_: ; @_Z18dot_product_kernelIdEviPKT_S2_PS0_
; %bb.0:
	s_clause 0x1
	s_load_b32 s8, s[0:1], 0x2c
	s_load_b64 s[2:3], s[0:1], 0x18
	s_bfe_u32 s4, ttmp6, 0x4000c
	s_and_b32 s5, ttmp6, 15
	s_add_co_i32 s4, s4, 1
	s_getreg_b32 s6, hwreg(HW_REG_IB_STS2, 6, 4)
	s_mul_i32 s4, ttmp9, s4
	s_load_b32 s9, s[0:1], 0x0
	s_add_co_i32 s10, s5, s4
	s_cmp_eq_u32 s6, 0
	s_load_b128 s[4:7], s[0:1], 0x8
	s_wait_xcnt 0x0
	s_cselect_b32 s0, ttmp9, s10
	v_mov_b64_e32 v[2:3], 0
	s_wait_kmcnt 0x0
	s_and_b32 s1, s8, 0xffff
	s_delay_alu instid0(SALU_CYCLE_1) | instskip(SKIP_1) | instid1(VALU_DEP_1)
	v_mad_u32 v1, s0, s1, v0
	s_mov_b32 s1, exec_lo
	v_cmpx_gt_i32_e64 s9, v1
	s_cbranch_execz .LBB5_2
; %bb.1:
	s_clause 0x1
	global_load_b64 v[2:3], v1, s[4:5] scale_offset
	global_load_b64 v[4:5], v1, s[6:7] scale_offset
	s_wait_loadcnt 0x0
	v_mul_f64_e32 v[2:3], v[2:3], v[4:5]
.LBB5_2:
	s_or_b32 exec_lo, exec_lo, s1
	v_lshlrev_b32_e32 v1, 3, v0
	s_mov_b32 s1, exec_lo
	ds_store_b64 v1, v[2:3]
	s_wait_dscnt 0x0
	s_barrier_signal -1
	s_barrier_wait -1
	v_cmpx_gt_u32_e32 0x80, v0
	s_cbranch_execz .LBB5_4
; %bb.3:
	ds_load_2addr_stride64_b64 v[2:5], v1 offset1:2
	s_wait_dscnt 0x0
	v_add_f64_e32 v[2:3], v[4:5], v[2:3]
	ds_store_b64 v1, v[2:3]
.LBB5_4:
	s_or_b32 exec_lo, exec_lo, s1
	s_delay_alu instid0(SALU_CYCLE_1)
	s_mov_b32 s1, exec_lo
	s_wait_dscnt 0x0
	s_barrier_signal -1
	s_barrier_wait -1
	v_cmpx_gt_u32_e32 64, v0
	s_cbranch_execz .LBB5_6
; %bb.5:
	ds_load_2addr_stride64_b64 v[2:5], v1 offset1:1
	s_wait_dscnt 0x0
	v_add_f64_e32 v[2:3], v[4:5], v[2:3]
	ds_store_b64 v1, v[2:3]
.LBB5_6:
	s_or_b32 exec_lo, exec_lo, s1
	s_delay_alu instid0(SALU_CYCLE_1)
	s_mov_b32 s1, exec_lo
	s_wait_dscnt 0x0
	s_barrier_signal -1
	s_barrier_wait -1
	v_cmpx_gt_u32_e32 32, v0
	s_cbranch_execz .LBB5_8
; %bb.7:
	ds_load_2addr_b64 v[2:5], v1 offset1:32
	s_wait_dscnt 0x0
	v_add_f64_e32 v[2:3], v[4:5], v[2:3]
	ds_store_b64 v1, v[2:3]
.LBB5_8:
	s_or_b32 exec_lo, exec_lo, s1
	s_delay_alu instid0(SALU_CYCLE_1)
	s_mov_b32 s1, exec_lo
	s_wait_dscnt 0x0
	s_barrier_signal -1
	s_barrier_wait -1
	v_cmpx_gt_u32_e32 16, v0
	s_cbranch_execz .LBB5_10
; %bb.9:
	ds_load_2addr_b64 v[2:5], v1 offset1:16
	s_wait_dscnt 0x0
	v_add_f64_e32 v[2:3], v[4:5], v[2:3]
	ds_store_b64 v1, v[2:3]
.LBB5_10:
	;; [unrolled: 14-line block ×5, first 2 shown]
	s_or_b32 exec_lo, exec_lo, s1
	v_cmp_eq_u32_e32 vcc_lo, 0, v0
	s_wait_dscnt 0x0
	s_barrier_signal -1
	s_barrier_wait -1
	s_and_saveexec_b32 s1, vcc_lo
	s_cbranch_execz .LBB5_18
; %bb.17:
	ds_load_2addr_b64 v[2:5], v1 offset1:1
	s_wait_dscnt 0x0
	v_add_f64_e32 v[2:3], v[4:5], v[2:3]
	ds_store_b64 v1, v[2:3]
.LBB5_18:
	s_or_b32 exec_lo, exec_lo, s1
	s_wait_dscnt 0x0
	s_barrier_signal -1
	s_barrier_wait -1
	s_and_saveexec_b32 s1, vcc_lo
	s_cbranch_execz .LBB5_20
; %bb.19:
	v_dual_mov_b32 v0, 0 :: v_dual_mov_b32 v2, s0
	ds_load_b64 v[0:1], v0
	s_wait_dscnt 0x0
	global_store_b64 v2, v[0:1], s[2:3] scale_offset
.LBB5_20:
	s_endpgm
	.section	.rodata,"a",@progbits
	.p2align	6, 0x0
	.amdhsa_kernel _Z18dot_product_kernelIdEviPKT_S2_PS0_
		.amdhsa_group_segment_fixed_size 2048
		.amdhsa_private_segment_fixed_size 0
		.amdhsa_kernarg_size 288
		.amdhsa_user_sgpr_count 2
		.amdhsa_user_sgpr_dispatch_ptr 0
		.amdhsa_user_sgpr_queue_ptr 0
		.amdhsa_user_sgpr_kernarg_segment_ptr 1
		.amdhsa_user_sgpr_dispatch_id 0
		.amdhsa_user_sgpr_kernarg_preload_length 0
		.amdhsa_user_sgpr_kernarg_preload_offset 0
		.amdhsa_user_sgpr_private_segment_size 0
		.amdhsa_wavefront_size32 1
		.amdhsa_uses_dynamic_stack 0
		.amdhsa_enable_private_segment 0
		.amdhsa_system_sgpr_workgroup_id_x 1
		.amdhsa_system_sgpr_workgroup_id_y 0
		.amdhsa_system_sgpr_workgroup_id_z 0
		.amdhsa_system_sgpr_workgroup_info 0
		.amdhsa_system_vgpr_workitem_id 0
		.amdhsa_next_free_vgpr 6
		.amdhsa_next_free_sgpr 11
		.amdhsa_named_barrier_count 0
		.amdhsa_reserve_vcc 1
		.amdhsa_float_round_mode_32 0
		.amdhsa_float_round_mode_16_64 0
		.amdhsa_float_denorm_mode_32 3
		.amdhsa_float_denorm_mode_16_64 3
		.amdhsa_fp16_overflow 0
		.amdhsa_memory_ordered 1
		.amdhsa_forward_progress 1
		.amdhsa_inst_pref_size 6
		.amdhsa_round_robin_scheduling 0
		.amdhsa_exception_fp_ieee_invalid_op 0
		.amdhsa_exception_fp_denorm_src 0
		.amdhsa_exception_fp_ieee_div_zero 0
		.amdhsa_exception_fp_ieee_overflow 0
		.amdhsa_exception_fp_ieee_underflow 0
		.amdhsa_exception_fp_ieee_inexact 0
		.amdhsa_exception_int_div_zero 0
	.end_amdhsa_kernel
	.section	.text._Z18dot_product_kernelIdEviPKT_S2_PS0_,"axG",@progbits,_Z18dot_product_kernelIdEviPKT_S2_PS0_,comdat
.Lfunc_end5:
	.size	_Z18dot_product_kernelIdEviPKT_S2_PS0_, .Lfunc_end5-_Z18dot_product_kernelIdEviPKT_S2_PS0_
                                        ; -- End function
	.set _Z18dot_product_kernelIdEviPKT_S2_PS0_.num_vgpr, 6
	.set _Z18dot_product_kernelIdEviPKT_S2_PS0_.num_agpr, 0
	.set _Z18dot_product_kernelIdEviPKT_S2_PS0_.numbered_sgpr, 11
	.set _Z18dot_product_kernelIdEviPKT_S2_PS0_.num_named_barrier, 0
	.set _Z18dot_product_kernelIdEviPKT_S2_PS0_.private_seg_size, 0
	.set _Z18dot_product_kernelIdEviPKT_S2_PS0_.uses_vcc, 1
	.set _Z18dot_product_kernelIdEviPKT_S2_PS0_.uses_flat_scratch, 0
	.set _Z18dot_product_kernelIdEviPKT_S2_PS0_.has_dyn_sized_stack, 0
	.set _Z18dot_product_kernelIdEviPKT_S2_PS0_.has_recursion, 0
	.set _Z18dot_product_kernelIdEviPKT_S2_PS0_.has_indirect_call, 0
	.section	.AMDGPU.csdata,"",@progbits
; Kernel info:
; codeLenInByte = 676
; TotalNumSgprs: 13
; NumVgprs: 6
; ScratchSize: 0
; MemoryBound: 0
; FloatMode: 240
; IeeeMode: 1
; LDSByteSize: 2048 bytes/workgroup (compile time only)
; SGPRBlocks: 0
; VGPRBlocks: 0
; NumSGPRsForWavesPerEU: 13
; NumVGPRsForWavesPerEU: 6
; NamedBarCnt: 0
; Occupancy: 16
; WaveLimiterHint : 0
; COMPUTE_PGM_RSRC2:SCRATCH_EN: 0
; COMPUTE_PGM_RSRC2:USER_SGPR: 2
; COMPUTE_PGM_RSRC2:TRAP_HANDLER: 0
; COMPUTE_PGM_RSRC2:TGID_X_EN: 1
; COMPUTE_PGM_RSRC2:TGID_Y_EN: 0
; COMPUTE_PGM_RSRC2:TGID_Z_EN: 0
; COMPUTE_PGM_RSRC2:TIDIG_COMP_CNT: 0
	.section	.text._Z20saxpy_inplace_kernelIdEviPT_PKS0_S0_,"axG",@progbits,_Z20saxpy_inplace_kernelIdEviPT_PKS0_S0_,comdat
	.protected	_Z20saxpy_inplace_kernelIdEviPT_PKS0_S0_ ; -- Begin function _Z20saxpy_inplace_kernelIdEviPT_PKS0_S0_
	.globl	_Z20saxpy_inplace_kernelIdEviPT_PKS0_S0_
	.p2align	8
	.type	_Z20saxpy_inplace_kernelIdEviPT_PKS0_S0_,@function
_Z20saxpy_inplace_kernelIdEviPT_PKS0_S0_: ; @_Z20saxpy_inplace_kernelIdEviPT_PKS0_S0_
; %bb.0:
	s_clause 0x1
	s_load_b32 s2, s[0:1], 0x2c
	s_load_b32 s3, s[0:1], 0x0
	s_bfe_u32 s4, ttmp6, 0x4000c
	s_and_b32 s5, ttmp6, 15
	s_add_co_i32 s4, s4, 1
	s_getreg_b32 s6, hwreg(HW_REG_IB_STS2, 6, 4)
	s_mul_i32 s4, ttmp9, s4
	s_delay_alu instid0(SALU_CYCLE_1) | instskip(SKIP_4) | instid1(SALU_CYCLE_1)
	s_add_co_i32 s5, s5, s4
	s_wait_kmcnt 0x0
	s_and_b32 s2, s2, 0xffff
	s_cmp_eq_u32 s6, 0
	s_cselect_b32 s4, ttmp9, s5
	v_mad_u32 v0, s4, s2, v0
	s_mov_b32 s2, exec_lo
	s_delay_alu instid0(VALU_DEP_1)
	v_cmpx_gt_i32_e64 s3, v0
	s_cbranch_execz .LBB6_2
; %bb.1:
	s_clause 0x1
	s_load_b128 s[4:7], s[0:1], 0x8
	s_load_b64 s[2:3], s[0:1], 0x18
	s_wait_kmcnt 0x0
	s_clause 0x1
	global_load_b64 v[2:3], v0, s[6:7] scale_offset
	global_load_b64 v[4:5], v0, s[4:5] scale_offset
	s_wait_loadcnt 0x0
	v_fmac_f64_e32 v[4:5], s[2:3], v[2:3]
	global_store_b64 v0, v[4:5], s[4:5] scale_offset
.LBB6_2:
	s_endpgm
	.section	.rodata,"a",@progbits
	.p2align	6, 0x0
	.amdhsa_kernel _Z20saxpy_inplace_kernelIdEviPT_PKS0_S0_
		.amdhsa_group_segment_fixed_size 0
		.amdhsa_private_segment_fixed_size 0
		.amdhsa_kernarg_size 288
		.amdhsa_user_sgpr_count 2
		.amdhsa_user_sgpr_dispatch_ptr 0
		.amdhsa_user_sgpr_queue_ptr 0
		.amdhsa_user_sgpr_kernarg_segment_ptr 1
		.amdhsa_user_sgpr_dispatch_id 0
		.amdhsa_user_sgpr_kernarg_preload_length 0
		.amdhsa_user_sgpr_kernarg_preload_offset 0
		.amdhsa_user_sgpr_private_segment_size 0
		.amdhsa_wavefront_size32 1
		.amdhsa_uses_dynamic_stack 0
		.amdhsa_enable_private_segment 0
		.amdhsa_system_sgpr_workgroup_id_x 1
		.amdhsa_system_sgpr_workgroup_id_y 0
		.amdhsa_system_sgpr_workgroup_id_z 0
		.amdhsa_system_sgpr_workgroup_info 0
		.amdhsa_system_vgpr_workitem_id 0
		.amdhsa_next_free_vgpr 6
		.amdhsa_next_free_sgpr 8
		.amdhsa_named_barrier_count 0
		.amdhsa_reserve_vcc 0
		.amdhsa_float_round_mode_32 0
		.amdhsa_float_round_mode_16_64 0
		.amdhsa_float_denorm_mode_32 3
		.amdhsa_float_denorm_mode_16_64 3
		.amdhsa_fp16_overflow 0
		.amdhsa_memory_ordered 1
		.amdhsa_forward_progress 1
		.amdhsa_inst_pref_size 2
		.amdhsa_round_robin_scheduling 0
		.amdhsa_exception_fp_ieee_invalid_op 0
		.amdhsa_exception_fp_denorm_src 0
		.amdhsa_exception_fp_ieee_div_zero 0
		.amdhsa_exception_fp_ieee_overflow 0
		.amdhsa_exception_fp_ieee_underflow 0
		.amdhsa_exception_fp_ieee_inexact 0
		.amdhsa_exception_int_div_zero 0
	.end_amdhsa_kernel
	.section	.text._Z20saxpy_inplace_kernelIdEviPT_PKS0_S0_,"axG",@progbits,_Z20saxpy_inplace_kernelIdEviPT_PKS0_S0_,comdat
.Lfunc_end6:
	.size	_Z20saxpy_inplace_kernelIdEviPT_PKS0_S0_, .Lfunc_end6-_Z20saxpy_inplace_kernelIdEviPT_PKS0_S0_
                                        ; -- End function
	.set _Z20saxpy_inplace_kernelIdEviPT_PKS0_S0_.num_vgpr, 6
	.set _Z20saxpy_inplace_kernelIdEviPT_PKS0_S0_.num_agpr, 0
	.set _Z20saxpy_inplace_kernelIdEviPT_PKS0_S0_.numbered_sgpr, 8
	.set _Z20saxpy_inplace_kernelIdEviPT_PKS0_S0_.num_named_barrier, 0
	.set _Z20saxpy_inplace_kernelIdEviPT_PKS0_S0_.private_seg_size, 0
	.set _Z20saxpy_inplace_kernelIdEviPT_PKS0_S0_.uses_vcc, 0
	.set _Z20saxpy_inplace_kernelIdEviPT_PKS0_S0_.uses_flat_scratch, 0
	.set _Z20saxpy_inplace_kernelIdEviPT_PKS0_S0_.has_dyn_sized_stack, 0
	.set _Z20saxpy_inplace_kernelIdEviPT_PKS0_S0_.has_recursion, 0
	.set _Z20saxpy_inplace_kernelIdEviPT_PKS0_S0_.has_indirect_call, 0
	.section	.AMDGPU.csdata,"",@progbits
; Kernel info:
; codeLenInByte = 176
; TotalNumSgprs: 8
; NumVgprs: 6
; ScratchSize: 0
; MemoryBound: 0
; FloatMode: 240
; IeeeMode: 1
; LDSByteSize: 0 bytes/workgroup (compile time only)
; SGPRBlocks: 0
; VGPRBlocks: 0
; NumSGPRsForWavesPerEU: 8
; NumVGPRsForWavesPerEU: 6
; NamedBarCnt: 0
; Occupancy: 16
; WaveLimiterHint : 0
; COMPUTE_PGM_RSRC2:SCRATCH_EN: 0
; COMPUTE_PGM_RSRC2:USER_SGPR: 2
; COMPUTE_PGM_RSRC2:TRAP_HANDLER: 0
; COMPUTE_PGM_RSRC2:TGID_X_EN: 1
; COMPUTE_PGM_RSRC2:TGID_Y_EN: 0
; COMPUTE_PGM_RSRC2:TGID_Z_EN: 0
; COMPUTE_PGM_RSRC2:TIDIG_COMP_CNT: 0
	.section	.text._Z23multiply_inplace_kernelIdEviPT_S0_,"axG",@progbits,_Z23multiply_inplace_kernelIdEviPT_S0_,comdat
	.protected	_Z23multiply_inplace_kernelIdEviPT_S0_ ; -- Begin function _Z23multiply_inplace_kernelIdEviPT_S0_
	.globl	_Z23multiply_inplace_kernelIdEviPT_S0_
	.p2align	8
	.type	_Z23multiply_inplace_kernelIdEviPT_S0_,@function
_Z23multiply_inplace_kernelIdEviPT_S0_: ; @_Z23multiply_inplace_kernelIdEviPT_S0_
; %bb.0:
	s_clause 0x1
	s_load_b32 s2, s[0:1], 0x24
	s_load_b32 s3, s[0:1], 0x0
	s_bfe_u32 s4, ttmp6, 0x4000c
	s_and_b32 s5, ttmp6, 15
	s_add_co_i32 s4, s4, 1
	s_getreg_b32 s6, hwreg(HW_REG_IB_STS2, 6, 4)
	s_mul_i32 s4, ttmp9, s4
	s_delay_alu instid0(SALU_CYCLE_1) | instskip(SKIP_4) | instid1(SALU_CYCLE_1)
	s_add_co_i32 s5, s5, s4
	s_wait_kmcnt 0x0
	s_and_b32 s2, s2, 0xffff
	s_cmp_eq_u32 s6, 0
	s_cselect_b32 s4, ttmp9, s5
	v_mad_u32 v0, s4, s2, v0
	s_mov_b32 s2, exec_lo
	s_delay_alu instid0(VALU_DEP_1)
	v_cmpx_gt_i32_e64 s3, v0
	s_cbranch_execz .LBB7_2
; %bb.1:
	s_load_b128 s[4:7], s[0:1], 0x8
	s_wait_kmcnt 0x0
	global_load_b64 v[2:3], v0, s[4:5] scale_offset
	s_wait_loadcnt 0x0
	v_mul_f64_e32 v[2:3], s[6:7], v[2:3]
	global_store_b64 v0, v[2:3], s[4:5] scale_offset
.LBB7_2:
	s_endpgm
	.section	.rodata,"a",@progbits
	.p2align	6, 0x0
	.amdhsa_kernel _Z23multiply_inplace_kernelIdEviPT_S0_
		.amdhsa_group_segment_fixed_size 0
		.amdhsa_private_segment_fixed_size 0
		.amdhsa_kernarg_size 280
		.amdhsa_user_sgpr_count 2
		.amdhsa_user_sgpr_dispatch_ptr 0
		.amdhsa_user_sgpr_queue_ptr 0
		.amdhsa_user_sgpr_kernarg_segment_ptr 1
		.amdhsa_user_sgpr_dispatch_id 0
		.amdhsa_user_sgpr_kernarg_preload_length 0
		.amdhsa_user_sgpr_kernarg_preload_offset 0
		.amdhsa_user_sgpr_private_segment_size 0
		.amdhsa_wavefront_size32 1
		.amdhsa_uses_dynamic_stack 0
		.amdhsa_enable_private_segment 0
		.amdhsa_system_sgpr_workgroup_id_x 1
		.amdhsa_system_sgpr_workgroup_id_y 0
		.amdhsa_system_sgpr_workgroup_id_z 0
		.amdhsa_system_sgpr_workgroup_info 0
		.amdhsa_system_vgpr_workitem_id 0
		.amdhsa_next_free_vgpr 4
		.amdhsa_next_free_sgpr 8
		.amdhsa_named_barrier_count 0
		.amdhsa_reserve_vcc 0
		.amdhsa_float_round_mode_32 0
		.amdhsa_float_round_mode_16_64 0
		.amdhsa_float_denorm_mode_32 3
		.amdhsa_float_denorm_mode_16_64 3
		.amdhsa_fp16_overflow 0
		.amdhsa_memory_ordered 1
		.amdhsa_forward_progress 1
		.amdhsa_inst_pref_size 2
		.amdhsa_round_robin_scheduling 0
		.amdhsa_exception_fp_ieee_invalid_op 0
		.amdhsa_exception_fp_denorm_src 0
		.amdhsa_exception_fp_ieee_div_zero 0
		.amdhsa_exception_fp_ieee_overflow 0
		.amdhsa_exception_fp_ieee_underflow 0
		.amdhsa_exception_fp_ieee_inexact 0
		.amdhsa_exception_int_div_zero 0
	.end_amdhsa_kernel
	.section	.text._Z23multiply_inplace_kernelIdEviPT_S0_,"axG",@progbits,_Z23multiply_inplace_kernelIdEviPT_S0_,comdat
.Lfunc_end7:
	.size	_Z23multiply_inplace_kernelIdEviPT_S0_, .Lfunc_end7-_Z23multiply_inplace_kernelIdEviPT_S0_
                                        ; -- End function
	.set _Z23multiply_inplace_kernelIdEviPT_S0_.num_vgpr, 4
	.set _Z23multiply_inplace_kernelIdEviPT_S0_.num_agpr, 0
	.set _Z23multiply_inplace_kernelIdEviPT_S0_.numbered_sgpr, 8
	.set _Z23multiply_inplace_kernelIdEviPT_S0_.num_named_barrier, 0
	.set _Z23multiply_inplace_kernelIdEviPT_S0_.private_seg_size, 0
	.set _Z23multiply_inplace_kernelIdEviPT_S0_.uses_vcc, 0
	.set _Z23multiply_inplace_kernelIdEviPT_S0_.uses_flat_scratch, 0
	.set _Z23multiply_inplace_kernelIdEviPT_S0_.has_dyn_sized_stack, 0
	.set _Z23multiply_inplace_kernelIdEviPT_S0_.has_recursion, 0
	.set _Z23multiply_inplace_kernelIdEviPT_S0_.has_indirect_call, 0
	.section	.AMDGPU.csdata,"",@progbits
; Kernel info:
; codeLenInByte = 148
; TotalNumSgprs: 8
; NumVgprs: 4
; ScratchSize: 0
; MemoryBound: 0
; FloatMode: 240
; IeeeMode: 1
; LDSByteSize: 0 bytes/workgroup (compile time only)
; SGPRBlocks: 0
; VGPRBlocks: 0
; NumSGPRsForWavesPerEU: 8
; NumVGPRsForWavesPerEU: 4
; NamedBarCnt: 0
; Occupancy: 16
; WaveLimiterHint : 0
; COMPUTE_PGM_RSRC2:SCRATCH_EN: 0
; COMPUTE_PGM_RSRC2:USER_SGPR: 2
; COMPUTE_PGM_RSRC2:TRAP_HANDLER: 0
; COMPUTE_PGM_RSRC2:TGID_X_EN: 1
; COMPUTE_PGM_RSRC2:TGID_Y_EN: 0
; COMPUTE_PGM_RSRC2:TGID_Z_EN: 0
; COMPUTE_PGM_RSRC2:TIDIG_COMP_CNT: 0
	.section	.AMDGPU.gpr_maximums,"",@progbits
	.set amdgpu.max_num_vgpr, 0
	.set amdgpu.max_num_agpr, 0
	.set amdgpu.max_num_sgpr, 0
	.section	.AMDGPU.csdata,"",@progbits
	.type	__hip_cuid_4fd6bbfd417b8be5,@object ; @__hip_cuid_4fd6bbfd417b8be5
	.section	.bss,"aw",@nobits
	.globl	__hip_cuid_4fd6bbfd417b8be5
__hip_cuid_4fd6bbfd417b8be5:
	.byte	0                               ; 0x0
	.size	__hip_cuid_4fd6bbfd417b8be5, 1

	.ident	"AMD clang version 22.0.0git (https://github.com/RadeonOpenCompute/llvm-project roc-7.2.4 26084 f58b06dce1f9c15707c5f808fd002e18c2accf7e)"
	.section	".note.GNU-stack","",@progbits
	.addrsig
	.addrsig_sym __hip_cuid_4fd6bbfd417b8be5
	.amdgpu_metadata
---
amdhsa.kernels:
  - .args:
      - .offset:         0
        .size:           4
        .value_kind:     by_value
      - .offset:         4
        .size:           4
        .value_kind:     by_value
      - .offset:         8
        .size:           4
        .value_kind:     by_value
      - .address_space:  global
        .offset:         16
        .size:           8
        .value_kind:     global_buffer
      - .address_space:  global
        .offset:         24
        .size:           8
        .value_kind:     global_buffer
      - .address_space:  global
        .offset:         32
        .size:           8
        .value_kind:     global_buffer
      - .address_space:  global
        .offset:         40
        .size:           8
        .value_kind:     global_buffer
      - .address_space:  global
        .offset:         48
        .size:           8
        .value_kind:     global_buffer
      - .offset:         56
        .size:           4
        .value_kind:     hidden_block_count_x
      - .offset:         60
        .size:           4
        .value_kind:     hidden_block_count_y
      - .offset:         64
        .size:           4
        .value_kind:     hidden_block_count_z
      - .offset:         68
        .size:           2
        .value_kind:     hidden_group_size_x
      - .offset:         70
        .size:           2
        .value_kind:     hidden_group_size_y
      - .offset:         72
        .size:           2
        .value_kind:     hidden_group_size_z
      - .offset:         74
        .size:           2
        .value_kind:     hidden_remainder_x
      - .offset:         76
        .size:           2
        .value_kind:     hidden_remainder_y
      - .offset:         78
        .size:           2
        .value_kind:     hidden_remainder_z
      - .offset:         96
        .size:           8
        .value_kind:     hidden_global_offset_x
      - .offset:         104
        .size:           8
        .value_kind:     hidden_global_offset_y
      - .offset:         112
        .size:           8
        .value_kind:     hidden_global_offset_z
      - .offset:         120
        .size:           2
        .value_kind:     hidden_grid_dims
    .group_segment_fixed_size: 1024
    .kernarg_segment_align: 8
    .kernarg_segment_size: 312
    .language:       OpenCL C
    .language_version:
      - 2
      - 0
    .max_flat_workgroup_size: 1024
    .name:           _Z20warp_multiply_kernelIfEviiiPKiS1_PKT_S4_PS2_
    .private_segment_fixed_size: 0
    .sgpr_count:     17
    .sgpr_spill_count: 0
    .symbol:         _Z20warp_multiply_kernelIfEviiiPKiS1_PKT_S4_PS2_.kd
    .uniform_work_group_size: 1
    .uses_dynamic_stack: false
    .vgpr_count:     15
    .vgpr_spill_count: 0
    .wavefront_size: 32
  - .args:
      - .offset:         0
        .size:           4
        .value_kind:     by_value
      - .address_space:  global
        .offset:         8
        .size:           8
        .value_kind:     global_buffer
      - .address_space:  global
        .offset:         16
        .size:           8
        .value_kind:     global_buffer
      - .address_space:  global
        .offset:         24
        .size:           8
        .value_kind:     global_buffer
      - .offset:         32
        .size:           4
        .value_kind:     hidden_block_count_x
      - .offset:         36
        .size:           4
        .value_kind:     hidden_block_count_y
      - .offset:         40
        .size:           4
        .value_kind:     hidden_block_count_z
      - .offset:         44
        .size:           2
        .value_kind:     hidden_group_size_x
      - .offset:         46
        .size:           2
        .value_kind:     hidden_group_size_y
      - .offset:         48
        .size:           2
        .value_kind:     hidden_group_size_z
      - .offset:         50
        .size:           2
        .value_kind:     hidden_remainder_x
      - .offset:         52
        .size:           2
        .value_kind:     hidden_remainder_y
      - .offset:         54
        .size:           2
        .value_kind:     hidden_remainder_z
      - .offset:         72
        .size:           8
        .value_kind:     hidden_global_offset_x
      - .offset:         80
        .size:           8
        .value_kind:     hidden_global_offset_y
      - .offset:         88
        .size:           8
        .value_kind:     hidden_global_offset_z
      - .offset:         96
        .size:           2
        .value_kind:     hidden_grid_dims
    .group_segment_fixed_size: 1024
    .kernarg_segment_align: 8
    .kernarg_segment_size: 288
    .language:       OpenCL C
    .language_version:
      - 2
      - 0
    .max_flat_workgroup_size: 1024
    .name:           _Z18dot_product_kernelIfEviPKT_S2_PS0_
    .private_segment_fixed_size: 0
    .sgpr_count:     13
    .sgpr_spill_count: 0
    .symbol:         _Z18dot_product_kernelIfEviPKT_S2_PS0_.kd
    .uniform_work_group_size: 1
    .uses_dynamic_stack: false
    .vgpr_count:     4
    .vgpr_spill_count: 0
    .wavefront_size: 32
  - .args:
      - .offset:         0
        .size:           4
        .value_kind:     by_value
      - .address_space:  global
        .offset:         8
        .size:           8
        .value_kind:     global_buffer
      - .address_space:  global
        .offset:         16
        .size:           8
        .value_kind:     global_buffer
      - .offset:         24
        .size:           4
        .value_kind:     by_value
      - .offset:         32
        .size:           4
        .value_kind:     hidden_block_count_x
      - .offset:         36
        .size:           4
        .value_kind:     hidden_block_count_y
      - .offset:         40
        .size:           4
        .value_kind:     hidden_block_count_z
      - .offset:         44
        .size:           2
        .value_kind:     hidden_group_size_x
      - .offset:         46
        .size:           2
        .value_kind:     hidden_group_size_y
      - .offset:         48
        .size:           2
        .value_kind:     hidden_group_size_z
      - .offset:         50
        .size:           2
        .value_kind:     hidden_remainder_x
      - .offset:         52
        .size:           2
        .value_kind:     hidden_remainder_y
      - .offset:         54
        .size:           2
        .value_kind:     hidden_remainder_z
      - .offset:         72
        .size:           8
        .value_kind:     hidden_global_offset_x
      - .offset:         80
        .size:           8
        .value_kind:     hidden_global_offset_y
      - .offset:         88
        .size:           8
        .value_kind:     hidden_global_offset_z
      - .offset:         96
        .size:           2
        .value_kind:     hidden_grid_dims
    .group_segment_fixed_size: 0
    .kernarg_segment_align: 8
    .kernarg_segment_size: 288
    .language:       OpenCL C
    .language_version:
      - 2
      - 0
    .max_flat_workgroup_size: 1024
    .name:           _Z20saxpy_inplace_kernelIfEviPT_PKS0_S0_
    .private_segment_fixed_size: 0
    .sgpr_count:     8
    .sgpr_spill_count: 0
    .symbol:         _Z20saxpy_inplace_kernelIfEviPT_PKS0_S0_.kd
    .uniform_work_group_size: 1
    .uses_dynamic_stack: false
    .vgpr_count:     3
    .vgpr_spill_count: 0
    .wavefront_size: 32
  - .args:
      - .offset:         0
        .size:           4
        .value_kind:     by_value
      - .address_space:  global
        .offset:         8
        .size:           8
        .value_kind:     global_buffer
      - .offset:         16
        .size:           4
        .value_kind:     by_value
      - .offset:         24
        .size:           4
        .value_kind:     hidden_block_count_x
      - .offset:         28
        .size:           4
        .value_kind:     hidden_block_count_y
      - .offset:         32
        .size:           4
        .value_kind:     hidden_block_count_z
      - .offset:         36
        .size:           2
        .value_kind:     hidden_group_size_x
      - .offset:         38
        .size:           2
        .value_kind:     hidden_group_size_y
      - .offset:         40
        .size:           2
        .value_kind:     hidden_group_size_z
      - .offset:         42
        .size:           2
        .value_kind:     hidden_remainder_x
      - .offset:         44
        .size:           2
        .value_kind:     hidden_remainder_y
      - .offset:         46
        .size:           2
        .value_kind:     hidden_remainder_z
      - .offset:         64
        .size:           8
        .value_kind:     hidden_global_offset_x
      - .offset:         72
        .size:           8
        .value_kind:     hidden_global_offset_y
      - .offset:         80
        .size:           8
        .value_kind:     hidden_global_offset_z
      - .offset:         88
        .size:           2
        .value_kind:     hidden_grid_dims
    .group_segment_fixed_size: 0
    .kernarg_segment_align: 8
    .kernarg_segment_size: 280
    .language:       OpenCL C
    .language_version:
      - 2
      - 0
    .max_flat_workgroup_size: 1024
    .name:           _Z23multiply_inplace_kernelIfEviPT_S0_
    .private_segment_fixed_size: 0
    .sgpr_count:     7
    .sgpr_spill_count: 0
    .symbol:         _Z23multiply_inplace_kernelIfEviPT_S0_.kd
    .uniform_work_group_size: 1
    .uses_dynamic_stack: false
    .vgpr_count:     2
    .vgpr_spill_count: 0
    .wavefront_size: 32
  - .args:
      - .offset:         0
        .size:           4
        .value_kind:     by_value
      - .offset:         4
        .size:           4
        .value_kind:     by_value
      - .offset:         8
        .size:           4
        .value_kind:     by_value
      - .address_space:  global
        .offset:         16
        .size:           8
        .value_kind:     global_buffer
      - .address_space:  global
        .offset:         24
        .size:           8
        .value_kind:     global_buffer
      - .address_space:  global
        .offset:         32
        .size:           8
        .value_kind:     global_buffer
      - .address_space:  global
        .offset:         40
        .size:           8
        .value_kind:     global_buffer
      - .address_space:  global
        .offset:         48
        .size:           8
        .value_kind:     global_buffer
      - .offset:         56
        .size:           4
        .value_kind:     hidden_block_count_x
      - .offset:         60
        .size:           4
        .value_kind:     hidden_block_count_y
      - .offset:         64
        .size:           4
        .value_kind:     hidden_block_count_z
      - .offset:         68
        .size:           2
        .value_kind:     hidden_group_size_x
      - .offset:         70
        .size:           2
        .value_kind:     hidden_group_size_y
      - .offset:         72
        .size:           2
        .value_kind:     hidden_group_size_z
      - .offset:         74
        .size:           2
        .value_kind:     hidden_remainder_x
      - .offset:         76
        .size:           2
        .value_kind:     hidden_remainder_y
      - .offset:         78
        .size:           2
        .value_kind:     hidden_remainder_z
      - .offset:         96
        .size:           8
        .value_kind:     hidden_global_offset_x
      - .offset:         104
        .size:           8
        .value_kind:     hidden_global_offset_y
      - .offset:         112
        .size:           8
        .value_kind:     hidden_global_offset_z
      - .offset:         120
        .size:           2
        .value_kind:     hidden_grid_dims
    .group_segment_fixed_size: 2048
    .kernarg_segment_align: 8
    .kernarg_segment_size: 312
    .language:       OpenCL C
    .language_version:
      - 2
      - 0
    .max_flat_workgroup_size: 1024
    .name:           _Z20warp_multiply_kernelIdEviiiPKiS1_PKT_S4_PS2_
    .private_segment_fixed_size: 0
    .sgpr_count:     17
    .sgpr_spill_count: 0
    .symbol:         _Z20warp_multiply_kernelIdEviiiPKiS1_PKT_S4_PS2_.kd
    .uniform_work_group_size: 1
    .uses_dynamic_stack: false
    .vgpr_count:     18
    .vgpr_spill_count: 0
    .wavefront_size: 32
  - .args:
      - .offset:         0
        .size:           4
        .value_kind:     by_value
      - .address_space:  global
        .offset:         8
        .size:           8
        .value_kind:     global_buffer
      - .address_space:  global
        .offset:         16
        .size:           8
        .value_kind:     global_buffer
      - .address_space:  global
        .offset:         24
        .size:           8
        .value_kind:     global_buffer
      - .offset:         32
        .size:           4
        .value_kind:     hidden_block_count_x
      - .offset:         36
        .size:           4
        .value_kind:     hidden_block_count_y
      - .offset:         40
        .size:           4
        .value_kind:     hidden_block_count_z
      - .offset:         44
        .size:           2
        .value_kind:     hidden_group_size_x
      - .offset:         46
        .size:           2
        .value_kind:     hidden_group_size_y
      - .offset:         48
        .size:           2
        .value_kind:     hidden_group_size_z
      - .offset:         50
        .size:           2
        .value_kind:     hidden_remainder_x
      - .offset:         52
        .size:           2
        .value_kind:     hidden_remainder_y
      - .offset:         54
        .size:           2
        .value_kind:     hidden_remainder_z
      - .offset:         72
        .size:           8
        .value_kind:     hidden_global_offset_x
      - .offset:         80
        .size:           8
        .value_kind:     hidden_global_offset_y
      - .offset:         88
        .size:           8
        .value_kind:     hidden_global_offset_z
      - .offset:         96
        .size:           2
        .value_kind:     hidden_grid_dims
    .group_segment_fixed_size: 2048
    .kernarg_segment_align: 8
    .kernarg_segment_size: 288
    .language:       OpenCL C
    .language_version:
      - 2
      - 0
    .max_flat_workgroup_size: 1024
    .name:           _Z18dot_product_kernelIdEviPKT_S2_PS0_
    .private_segment_fixed_size: 0
    .sgpr_count:     13
    .sgpr_spill_count: 0
    .symbol:         _Z18dot_product_kernelIdEviPKT_S2_PS0_.kd
    .uniform_work_group_size: 1
    .uses_dynamic_stack: false
    .vgpr_count:     6
    .vgpr_spill_count: 0
    .wavefront_size: 32
  - .args:
      - .offset:         0
        .size:           4
        .value_kind:     by_value
      - .address_space:  global
        .offset:         8
        .size:           8
        .value_kind:     global_buffer
      - .address_space:  global
        .offset:         16
        .size:           8
        .value_kind:     global_buffer
      - .offset:         24
        .size:           8
        .value_kind:     by_value
      - .offset:         32
        .size:           4
        .value_kind:     hidden_block_count_x
      - .offset:         36
        .size:           4
        .value_kind:     hidden_block_count_y
      - .offset:         40
        .size:           4
        .value_kind:     hidden_block_count_z
      - .offset:         44
        .size:           2
        .value_kind:     hidden_group_size_x
      - .offset:         46
        .size:           2
        .value_kind:     hidden_group_size_y
      - .offset:         48
        .size:           2
        .value_kind:     hidden_group_size_z
      - .offset:         50
        .size:           2
        .value_kind:     hidden_remainder_x
      - .offset:         52
        .size:           2
        .value_kind:     hidden_remainder_y
      - .offset:         54
        .size:           2
        .value_kind:     hidden_remainder_z
      - .offset:         72
        .size:           8
        .value_kind:     hidden_global_offset_x
      - .offset:         80
        .size:           8
        .value_kind:     hidden_global_offset_y
      - .offset:         88
        .size:           8
        .value_kind:     hidden_global_offset_z
      - .offset:         96
        .size:           2
        .value_kind:     hidden_grid_dims
    .group_segment_fixed_size: 0
    .kernarg_segment_align: 8
    .kernarg_segment_size: 288
    .language:       OpenCL C
    .language_version:
      - 2
      - 0
    .max_flat_workgroup_size: 1024
    .name:           _Z20saxpy_inplace_kernelIdEviPT_PKS0_S0_
    .private_segment_fixed_size: 0
    .sgpr_count:     8
    .sgpr_spill_count: 0
    .symbol:         _Z20saxpy_inplace_kernelIdEviPT_PKS0_S0_.kd
    .uniform_work_group_size: 1
    .uses_dynamic_stack: false
    .vgpr_count:     6
    .vgpr_spill_count: 0
    .wavefront_size: 32
  - .args:
      - .offset:         0
        .size:           4
        .value_kind:     by_value
      - .address_space:  global
        .offset:         8
        .size:           8
        .value_kind:     global_buffer
      - .offset:         16
        .size:           8
        .value_kind:     by_value
      - .offset:         24
        .size:           4
        .value_kind:     hidden_block_count_x
      - .offset:         28
        .size:           4
        .value_kind:     hidden_block_count_y
      - .offset:         32
        .size:           4
        .value_kind:     hidden_block_count_z
      - .offset:         36
        .size:           2
        .value_kind:     hidden_group_size_x
      - .offset:         38
        .size:           2
        .value_kind:     hidden_group_size_y
      - .offset:         40
        .size:           2
        .value_kind:     hidden_group_size_z
      - .offset:         42
        .size:           2
        .value_kind:     hidden_remainder_x
      - .offset:         44
        .size:           2
        .value_kind:     hidden_remainder_y
      - .offset:         46
        .size:           2
        .value_kind:     hidden_remainder_z
      - .offset:         64
        .size:           8
        .value_kind:     hidden_global_offset_x
      - .offset:         72
        .size:           8
        .value_kind:     hidden_global_offset_y
      - .offset:         80
        .size:           8
        .value_kind:     hidden_global_offset_z
      - .offset:         88
        .size:           2
        .value_kind:     hidden_grid_dims
    .group_segment_fixed_size: 0
    .kernarg_segment_align: 8
    .kernarg_segment_size: 280
    .language:       OpenCL C
    .language_version:
      - 2
      - 0
    .max_flat_workgroup_size: 1024
    .name:           _Z23multiply_inplace_kernelIdEviPT_S0_
    .private_segment_fixed_size: 0
    .sgpr_count:     8
    .sgpr_spill_count: 0
    .symbol:         _Z23multiply_inplace_kernelIdEviPT_S0_.kd
    .uniform_work_group_size: 1
    .uses_dynamic_stack: false
    .vgpr_count:     4
    .vgpr_spill_count: 0
    .wavefront_size: 32
amdhsa.target:   amdgcn-amd-amdhsa--gfx1250
amdhsa.version:
  - 1
  - 2
...

	.end_amdgpu_metadata
